;; amdgpu-corpus repo=ROCm/rocFFT kind=compiled arch=gfx1030 opt=O3
	.text
	.amdgcn_target "amdgcn-amd-amdhsa--gfx1030"
	.amdhsa_code_object_version 6
	.protected	fft_rtc_back_len242_factors_11_2_11_wgs_110_tpt_22_half_ip_CI_unitstride_sbrr_R2C_dirReg ; -- Begin function fft_rtc_back_len242_factors_11_2_11_wgs_110_tpt_22_half_ip_CI_unitstride_sbrr_R2C_dirReg
	.globl	fft_rtc_back_len242_factors_11_2_11_wgs_110_tpt_22_half_ip_CI_unitstride_sbrr_R2C_dirReg
	.p2align	8
	.type	fft_rtc_back_len242_factors_11_2_11_wgs_110_tpt_22_half_ip_CI_unitstride_sbrr_R2C_dirReg,@function
fft_rtc_back_len242_factors_11_2_11_wgs_110_tpt_22_half_ip_CI_unitstride_sbrr_R2C_dirReg: ; @fft_rtc_back_len242_factors_11_2_11_wgs_110_tpt_22_half_ip_CI_unitstride_sbrr_R2C_dirReg
; %bb.0:
	s_load_dwordx4 s[8:11], s[4:5], 0x0
	v_mul_u32_u24_e32 v1, 0xba3, v0
	s_clause 0x1
	s_load_dwordx2 s[2:3], s[4:5], 0x50
	s_load_dwordx2 s[12:13], s[4:5], 0x18
	v_mov_b32_e32 v5, 0
	v_mov_b32_e32 v3, 0
	;; [unrolled: 1-line block ×3, first 2 shown]
	v_lshrrev_b32_e32 v1, 16, v1
	v_mad_u64_u32 v[1:2], null, s6, 5, v[1:2]
	v_mov_b32_e32 v2, v5
	v_mov_b32_e32 v10, v2
	;; [unrolled: 1-line block ×3, first 2 shown]
	s_waitcnt lgkmcnt(0)
	v_cmp_lt_u64_e64 s0, s[10:11], 2
	s_and_b32 vcc_lo, exec_lo, s0
	s_cbranch_vccnz .LBB0_8
; %bb.1:
	s_load_dwordx2 s[0:1], s[4:5], 0x10
	v_mov_b32_e32 v3, 0
	v_mov_b32_e32 v8, v2
	s_add_u32 s6, s12, 8
	v_mov_b32_e32 v4, 0
	v_mov_b32_e32 v7, v1
	s_addc_u32 s7, s13, 0
	s_mov_b64 s[16:17], 1
	s_waitcnt lgkmcnt(0)
	s_add_u32 s14, s0, 8
	s_addc_u32 s15, s1, 0
.LBB0_2:                                ; =>This Inner Loop Header: Depth=1
	s_load_dwordx2 s[18:19], s[14:15], 0x0
                                        ; implicit-def: $vgpr9_vgpr10
	s_mov_b32 s0, exec_lo
	s_waitcnt lgkmcnt(0)
	v_or_b32_e32 v6, s19, v8
	v_cmpx_ne_u64_e32 0, v[5:6]
	s_xor_b32 s1, exec_lo, s0
	s_cbranch_execz .LBB0_4
; %bb.3:                                ;   in Loop: Header=BB0_2 Depth=1
	v_cvt_f32_u32_e32 v2, s18
	v_cvt_f32_u32_e32 v6, s19
	s_sub_u32 s0, 0, s18
	s_subb_u32 s20, 0, s19
	v_fmac_f32_e32 v2, 0x4f800000, v6
	v_rcp_f32_e32 v2, v2
	v_mul_f32_e32 v2, 0x5f7ffffc, v2
	v_mul_f32_e32 v6, 0x2f800000, v2
	v_trunc_f32_e32 v6, v6
	v_fmac_f32_e32 v2, 0xcf800000, v6
	v_cvt_u32_f32_e32 v6, v6
	v_cvt_u32_f32_e32 v2, v2
	v_mul_lo_u32 v9, s0, v6
	v_mul_hi_u32 v10, s0, v2
	v_mul_lo_u32 v11, s20, v2
	v_add_nc_u32_e32 v9, v10, v9
	v_mul_lo_u32 v10, s0, v2
	v_add_nc_u32_e32 v9, v9, v11
	v_mul_hi_u32 v11, v2, v10
	v_mul_lo_u32 v12, v2, v9
	v_mul_hi_u32 v13, v2, v9
	v_mul_hi_u32 v14, v6, v10
	v_mul_lo_u32 v10, v6, v10
	v_mul_hi_u32 v15, v6, v9
	v_mul_lo_u32 v9, v6, v9
	v_add_co_u32 v11, vcc_lo, v11, v12
	v_add_co_ci_u32_e32 v12, vcc_lo, 0, v13, vcc_lo
	v_add_co_u32 v10, vcc_lo, v11, v10
	v_add_co_ci_u32_e32 v10, vcc_lo, v12, v14, vcc_lo
	v_add_co_ci_u32_e32 v11, vcc_lo, 0, v15, vcc_lo
	v_add_co_u32 v9, vcc_lo, v10, v9
	v_add_co_ci_u32_e32 v10, vcc_lo, 0, v11, vcc_lo
	v_add_co_u32 v2, vcc_lo, v2, v9
	v_add_co_ci_u32_e32 v6, vcc_lo, v6, v10, vcc_lo
	v_mul_hi_u32 v9, s0, v2
	v_mul_lo_u32 v11, s20, v2
	v_mul_lo_u32 v10, s0, v6
	v_add_nc_u32_e32 v9, v9, v10
	v_mul_lo_u32 v10, s0, v2
	v_add_nc_u32_e32 v9, v9, v11
	v_mul_hi_u32 v11, v2, v10
	v_mul_lo_u32 v12, v2, v9
	v_mul_hi_u32 v13, v2, v9
	v_mul_hi_u32 v14, v6, v10
	v_mul_lo_u32 v10, v6, v10
	v_mul_hi_u32 v15, v6, v9
	v_mul_lo_u32 v9, v6, v9
	v_add_co_u32 v11, vcc_lo, v11, v12
	v_add_co_ci_u32_e32 v12, vcc_lo, 0, v13, vcc_lo
	v_add_co_u32 v10, vcc_lo, v11, v10
	v_add_co_ci_u32_e32 v10, vcc_lo, v12, v14, vcc_lo
	v_add_co_ci_u32_e32 v11, vcc_lo, 0, v15, vcc_lo
	v_add_co_u32 v9, vcc_lo, v10, v9
	v_add_co_ci_u32_e32 v10, vcc_lo, 0, v11, vcc_lo
	v_add_co_u32 v2, vcc_lo, v2, v9
	v_add_co_ci_u32_e32 v6, vcc_lo, v6, v10, vcc_lo
	v_mul_hi_u32 v15, v7, v2
	v_mad_u64_u32 v[11:12], null, v8, v2, 0
	v_mad_u64_u32 v[9:10], null, v7, v6, 0
	v_mad_u64_u32 v[13:14], null, v8, v6, 0
	v_add_co_u32 v2, vcc_lo, v15, v9
	v_add_co_ci_u32_e32 v6, vcc_lo, 0, v10, vcc_lo
	v_add_co_u32 v2, vcc_lo, v2, v11
	v_add_co_ci_u32_e32 v2, vcc_lo, v6, v12, vcc_lo
	v_add_co_ci_u32_e32 v6, vcc_lo, 0, v14, vcc_lo
	v_add_co_u32 v2, vcc_lo, v2, v13
	v_add_co_ci_u32_e32 v6, vcc_lo, 0, v6, vcc_lo
	v_mul_lo_u32 v11, s19, v2
	v_mad_u64_u32 v[9:10], null, s18, v2, 0
	v_mul_lo_u32 v12, s18, v6
	v_sub_co_u32 v9, vcc_lo, v7, v9
	v_add3_u32 v10, v10, v12, v11
	v_sub_nc_u32_e32 v11, v8, v10
	v_subrev_co_ci_u32_e64 v11, s0, s19, v11, vcc_lo
	v_add_co_u32 v12, s0, v2, 2
	v_add_co_ci_u32_e64 v13, s0, 0, v6, s0
	v_sub_co_u32 v14, s0, v9, s18
	v_sub_co_ci_u32_e32 v10, vcc_lo, v8, v10, vcc_lo
	v_subrev_co_ci_u32_e64 v11, s0, 0, v11, s0
	v_cmp_le_u32_e32 vcc_lo, s18, v14
	v_cmp_eq_u32_e64 s0, s19, v10
	v_cndmask_b32_e64 v14, 0, -1, vcc_lo
	v_cmp_le_u32_e32 vcc_lo, s19, v11
	v_cndmask_b32_e64 v15, 0, -1, vcc_lo
	v_cmp_le_u32_e32 vcc_lo, s18, v9
	;; [unrolled: 2-line block ×3, first 2 shown]
	v_cndmask_b32_e64 v16, 0, -1, vcc_lo
	v_cmp_eq_u32_e32 vcc_lo, s19, v11
	v_cndmask_b32_e64 v9, v16, v9, s0
	v_cndmask_b32_e32 v11, v15, v14, vcc_lo
	v_add_co_u32 v14, vcc_lo, v2, 1
	v_add_co_ci_u32_e32 v15, vcc_lo, 0, v6, vcc_lo
	v_cmp_ne_u32_e32 vcc_lo, 0, v11
	v_cndmask_b32_e32 v10, v15, v13, vcc_lo
	v_cndmask_b32_e32 v11, v14, v12, vcc_lo
	v_cmp_ne_u32_e32 vcc_lo, 0, v9
	v_cndmask_b32_e32 v10, v6, v10, vcc_lo
	v_cndmask_b32_e32 v9, v2, v11, vcc_lo
.LBB0_4:                                ;   in Loop: Header=BB0_2 Depth=1
	s_andn2_saveexec_b32 s0, s1
	s_cbranch_execz .LBB0_6
; %bb.5:                                ;   in Loop: Header=BB0_2 Depth=1
	v_cvt_f32_u32_e32 v2, s18
	s_sub_i32 s1, 0, s18
	v_rcp_iflag_f32_e32 v2, v2
	v_mul_f32_e32 v2, 0x4f7ffffe, v2
	v_cvt_u32_f32_e32 v2, v2
	v_mul_lo_u32 v6, s1, v2
	v_mul_hi_u32 v6, v2, v6
	v_add_nc_u32_e32 v2, v2, v6
	v_mul_hi_u32 v2, v7, v2
	v_mul_lo_u32 v6, v2, s18
	v_add_nc_u32_e32 v9, 1, v2
	v_sub_nc_u32_e32 v6, v7, v6
	v_subrev_nc_u32_e32 v10, s18, v6
	v_cmp_le_u32_e32 vcc_lo, s18, v6
	v_cndmask_b32_e32 v6, v6, v10, vcc_lo
	v_cndmask_b32_e32 v2, v2, v9, vcc_lo
	v_mov_b32_e32 v10, v5
	v_cmp_le_u32_e32 vcc_lo, s18, v6
	v_add_nc_u32_e32 v9, 1, v2
	v_cndmask_b32_e32 v9, v2, v9, vcc_lo
.LBB0_6:                                ;   in Loop: Header=BB0_2 Depth=1
	s_or_b32 exec_lo, exec_lo, s0
	s_load_dwordx2 s[0:1], s[6:7], 0x0
	v_mul_lo_u32 v2, v10, s18
	v_mul_lo_u32 v6, v9, s19
	v_mad_u64_u32 v[11:12], null, v9, s18, 0
	s_add_u32 s16, s16, 1
	s_addc_u32 s17, s17, 0
	s_add_u32 s6, s6, 8
	s_addc_u32 s7, s7, 0
	;; [unrolled: 2-line block ×3, first 2 shown]
	v_add3_u32 v2, v12, v6, v2
	v_sub_co_u32 v6, vcc_lo, v7, v11
	v_sub_co_ci_u32_e32 v2, vcc_lo, v8, v2, vcc_lo
	s_waitcnt lgkmcnt(0)
	v_mul_lo_u32 v7, s1, v6
	v_mul_lo_u32 v2, s0, v2
	v_mad_u64_u32 v[3:4], null, s0, v6, v[3:4]
	v_cmp_ge_u64_e64 s0, s[16:17], s[10:11]
	s_and_b32 vcc_lo, exec_lo, s0
	v_add3_u32 v4, v7, v4, v2
	s_cbranch_vccnz .LBB0_8
; %bb.7:                                ;   in Loop: Header=BB0_2 Depth=1
	v_mov_b32_e32 v7, v9
	v_mov_b32_e32 v8, v10
	s_branch .LBB0_2
.LBB0_8:
	s_lshl_b64 s[0:1], s[10:11], 3
	v_mul_hi_u32 v2, 0xcccccccd, v1
	s_add_u32 s0, s12, s0
	s_addc_u32 s1, s13, s1
	v_mul_hi_u32 v5, 0xba2e8bb, v0
	s_load_dwordx2 s[0:1], s[0:1], 0x0
	s_load_dwordx2 s[4:5], s[4:5], 0x20
	v_lshrrev_b32_e32 v2, 2, v2
	v_mul_u32_u24_e32 v5, 22, v5
	v_lshl_add_u32 v6, v2, 2, v2
	v_sub_nc_u32_e32 v8, v0, v5
	v_sub_nc_u32_e32 v0, v1, v6
	v_add_nc_u32_e32 v12, 22, v8
	v_add_nc_u32_e32 v17, 44, v8
	;; [unrolled: 1-line block ×3, first 2 shown]
	s_waitcnt lgkmcnt(0)
	v_mul_lo_u32 v5, s0, v10
	v_mul_lo_u32 v7, s1, v9
	v_mad_u64_u32 v[2:3], null, s0, v9, v[3:4]
	v_cmp_gt_u64_e32 vcc_lo, s[4:5], v[9:10]
	v_cmp_le_u64_e64 s0, s[4:5], v[9:10]
	v_add_nc_u32_e32 v15, 0x58, v8
	v_add_nc_u32_e32 v14, 0x6e, v8
	v_add3_u32 v3, v7, v3, v5
	s_and_saveexec_b32 s1, s0
	s_xor_b32 s0, exec_lo, s1
; %bb.9:
	v_add_nc_u32_e32 v12, 22, v8
	v_add_nc_u32_e32 v17, 44, v8
	;; [unrolled: 1-line block ×5, first 2 shown]
; %bb.10:
	s_or_saveexec_b32 s1, s0
	v_mul_u32_u24_e32 v0, 0xf3, v0
	v_lshlrev_b64 v[10:11], 2, v[2:3]
	v_lshlrev_b32_e32 v13, 2, v8
	v_lshlrev_b32_e32 v30, 2, v0
	s_xor_b32 exec_lo, exec_lo, s1
	s_cbranch_execz .LBB0_12
; %bb.11:
	v_mov_b32_e32 v9, 0
	v_add_co_u32 v2, s0, s2, v10
	v_add_co_ci_u32_e64 v3, s0, s3, v11, s0
	v_lshlrev_b64 v[0:1], 2, v[8:9]
	v_add_co_u32 v0, s0, v2, v0
	v_add_co_ci_u32_e64 v1, s0, v3, v1, s0
	s_clause 0xa
	global_load_dword v2, v[0:1], off
	global_load_dword v3, v[0:1], off offset:88
	global_load_dword v4, v[0:1], off offset:176
	;; [unrolled: 1-line block ×10, first 2 shown]
	v_add3_u32 v1, 0, v30, v13
	s_waitcnt vmcnt(9)
	ds_write2_b32 v1, v2, v3 offset1:22
	s_waitcnt vmcnt(7)
	ds_write2_b32 v1, v4, v5 offset0:44 offset1:66
	s_waitcnt vmcnt(5)
	ds_write2_b32 v1, v6, v7 offset0:88 offset1:110
	;; [unrolled: 2-line block ×4, first 2 shown]
	s_waitcnt vmcnt(0)
	ds_write_b32 v1, v0 offset:880
.LBB0_12:
	s_or_b32 exec_lo, exec_lo, s1
	v_add_nc_u32_e32 v25, 0, v30
	v_add3_u32 v9, 0, v13, v30
	s_waitcnt lgkmcnt(0)
	s_barrier
	buffer_gl0_inv
	v_add_nc_u32_e32 v24, v25, v13
	v_mov_b32_e32 v21, 0xbb47
	v_mov_b32_e32 v22, 0x36a6
	ds_read2_b32 v[0:1], v9 offset0:22 offset1:44
	ds_read2_b32 v[2:3], v9 offset0:198 offset1:220
	ds_read_b32 v20, v24
	ds_read2_b32 v[4:5], v9 offset0:66 offset1:88
	ds_read2_b32 v[6:7], v9 offset0:110 offset1:132
	;; [unrolled: 1-line block ×3, first 2 shown]
	v_mov_b32_e32 v27, 0xba0c
	v_mov_b32_e32 v28, 0xb93d
	;; [unrolled: 1-line block ×8, first 2 shown]
	s_waitcnt lgkmcnt(0)
	s_barrier
	buffer_gl0_inv
	v_pk_add_f16 v31, v0, v3 neg_lo:[0,1] neg_hi:[0,1]
	v_pk_add_f16 v32, v3, v0
	v_pk_add_f16 v0, v20, v0
	v_pk_add_f16 v34, v1, v2 neg_lo:[0,1] neg_hi:[0,1]
	v_pk_add_f16 v33, v2, v1
	v_pk_mul_f16 v35, 0xb853, v31 op_sel_hi:[0,1]
	v_mul_f16_sdwa v21, v31, v21 dst_sel:DWORD dst_unused:UNUSED_PAD src0_sel:WORD_1 src1_sel:DWORD
	v_pk_add_f16 v0, v0, v1
	v_pk_mul_f16 v40, 0xbb47, v34 op_sel_hi:[0,1]
	v_mul_f16_sdwa v36, v32, v22 dst_sel:DWORD dst_unused:UNUSED_PAD src0_sel:WORD_1 src1_sel:DWORD
	v_pk_fma_f16 v1, 0x3abb, v32, v35 op_sel:[0,0,1] op_sel_hi:[0,1,0]
	v_pk_fma_f16 v35, 0x3abb, v32, v35 op_sel:[0,0,1] op_sel_hi:[0,1,0] neg_lo:[0,0,1] neg_hi:[0,0,1]
	v_pk_add_f16 v0, v0, v4
	v_mul_f16_sdwa v39, v32, v28 dst_sel:DWORD dst_unused:UNUSED_PAD src0_sel:WORD_1 src1_sel:DWORD
	v_mul_f16_sdwa v41, v34, v27 dst_sel:DWORD dst_unused:UNUSED_PAD src0_sel:WORD_1 src1_sel:DWORD
	v_fmamk_f16 v43, v32, 0x36a6, v21
	v_pk_fma_f16 v49, 0x36a6, v33, v40 op_sel:[0,0,1] op_sel_hi:[0,1,0]
	v_pk_add_f16 v0, v0, v5
	v_pk_fma_f16 v40, 0x36a6, v33, v40 op_sel:[0,0,1] op_sel_hi:[0,1,0] neg_lo:[0,0,1] neg_hi:[0,0,1]
	v_bfi_b32 v51, 0xffff, v1, v35
	v_mul_f16_sdwa v23, v31, v23 dst_sel:DWORD dst_unused:UNUSED_PAD src0_sel:WORD_1 src1_sel:DWORD
	v_mul_f16_sdwa v37, v32, v26 dst_sel:DWORD dst_unused:UNUSED_PAD src0_sel:WORD_1 src1_sel:DWORD
	v_pk_add_f16 v0, v0, v6
	v_mul_f16_sdwa v42, v33, v28 dst_sel:DWORD dst_unused:UNUSED_PAD src0_sel:WORD_1 src1_sel:DWORD
	v_fmamk_f16 v44, v31, 0x3b47, v36
	v_fma_f16 v21, v32, 0x36a6, -v21
	v_fmamk_f16 v48, v31, 0x3a0c, v39
	v_pk_add_f16 v0, v0, v7
	v_fmamk_f16 v50, v33, 0xb93d, v41
	v_add_f16_e32 v43, v20, v43
	v_bfi_b32 v52, 0xffff, v49, v40
	v_pk_add_f16 v51, v20, v51
	v_pk_add_f16 v0, v0, v18
	v_fmac_f16_e32 v36, 0xbb47, v31
	v_fmamk_f16 v45, v32, 0xb08e, v23
	v_fmamk_f16 v46, v31, 0x3beb, v37
	v_add_f16_sdwa v44, v20, v44 dst_sel:DWORD dst_unused:UNUSED_PAD src0_sel:WORD_1 src1_sel:DWORD
	v_pk_add_f16 v0, v0, v19
	v_add_f16_e32 v21, v20, v21
	v_fma_f16 v41, v33, 0xb93d, -v41
	v_add_f16_e32 v43, v50, v43
	v_mul_f16_sdwa v50, v34, v29 dst_sel:DWORD dst_unused:UNUSED_PAD src0_sel:WORD_1 src1_sel:DWORD
	v_pk_add_f16 v0, v0, v2
	v_add_f16_sdwa v2, v20, v48 dst_sel:DWORD dst_unused:UNUSED_PAD src0_sel:WORD_1 src1_sel:DWORD
	v_pk_add_f16 v48, v52, v51
	v_fmamk_f16 v51, v34, 0x3a0c, v42
	v_mul_f16_sdwa v38, v31, v27 dst_sel:DWORD dst_unused:UNUSED_PAD src0_sel:WORD_1 src1_sel:DWORD
	v_pk_add_f16 v0, v0, v3
	v_mov_b32_e32 v3, 0xbbad
	v_fma_f16 v23, v32, 0xb08e, -v23
	v_add_f16_sdwa v36, v20, v36 dst_sel:DWORD dst_unused:UNUSED_PAD src0_sel:WORD_1 src1_sel:DWORD
	v_add_f16_e32 v45, v20, v45
	v_add_f16_sdwa v46, v20, v46 dst_sel:DWORD dst_unused:UNUSED_PAD src0_sel:WORD_1 src1_sel:DWORD
	v_mul_f16_sdwa v52, v33, v3 dst_sel:DWORD dst_unused:UNUSED_PAD src0_sel:WORD_1 src1_sel:DWORD
	v_add_f16_e32 v44, v51, v44
	v_add_f16_e32 v21, v41, v21
	v_fmac_f16_e32 v42, 0xba0c, v34
	v_fmamk_f16 v41, v33, 0xbbad, v50
	v_fmamk_f16 v51, v34, 0xb482, v52
	v_fmac_f16_e32 v37, 0xbbeb, v31
	v_fmamk_f16 v47, v32, 0xb93d, v38
	v_add_f16_e32 v23, v20, v23
	v_fma_f16 v50, v33, 0xbbad, -v50
	v_add_f16_e32 v36, v42, v36
	v_add_f16_e32 v41, v41, v45
	;; [unrolled: 1-line block ×3, first 2 shown]
	v_mul_f16_sdwa v45, v34, v53 dst_sel:DWORD dst_unused:UNUSED_PAD src0_sel:WORD_1 src1_sel:DWORD
	v_pk_add_f16 v46, v4, v19 neg_lo:[0,1] neg_hi:[0,1]
	v_fma_f16 v38, v32, 0xb93d, -v38
	v_add_f16_sdwa v37, v20, v37 dst_sel:DWORD dst_unused:UNUSED_PAD src0_sel:WORD_1 src1_sel:DWORD
	v_add_f16_e32 v47, v20, v47
	v_add_f16_e32 v23, v50, v23
	v_fmac_f16_e32 v52, 0x3482, v34
	v_mul_f16_sdwa v50, v33, v26 dst_sel:DWORD dst_unused:UNUSED_PAD src0_sel:WORD_1 src1_sel:DWORD
	v_fmamk_f16 v51, v33, 0xb08e, v45
	v_pk_add_f16 v4, v19, v4
	v_pk_mul_f16 v19, 0xbbeb, v46 op_sel_hi:[0,1]
	v_fmac_f16_e32 v39, 0xba0c, v31
	v_add_f16_e32 v38, v20, v38
	v_add_f16_e32 v37, v52, v37
	v_fmamk_f16 v52, v34, 0xbbeb, v50
	v_fma_f16 v45, v33, 0xb08e, -v45
	v_add_f16_e32 v47, v51, v47
	v_pk_fma_f16 v51, 0xb08e, v4, v19 op_sel:[0,0,1] op_sel_hi:[0,1,0]
	v_pk_fma_f16 v19, 0xb08e, v4, v19 op_sel:[0,0,1] op_sel_hi:[0,1,0] neg_lo:[0,0,1] neg_hi:[0,0,1]
	v_add_f16_sdwa v39, v20, v39 dst_sel:DWORD dst_unused:UNUSED_PAD src0_sel:WORD_1 src1_sel:DWORD
	v_add_f16_e32 v2, v52, v2
	v_add_f16_e32 v38, v45, v38
	v_fmac_f16_e32 v50, 0x3beb, v34
	v_mul_f16_sdwa v29, v46, v29 dst_sel:DWORD dst_unused:UNUSED_PAD src0_sel:WORD_1 src1_sel:DWORD
	v_bfi_b32 v45, 0xffff, v51, v19
	v_pk_add_f16 v52, v18, v5
	v_pk_add_f16 v5, v5, v18 neg_lo:[0,1] neg_hi:[0,1]
	v_mul_f16_sdwa v18, v4, v3 dst_sel:DWORD dst_unused:UNUSED_PAD src0_sel:WORD_1 src1_sel:DWORD
	v_fmamk_f16 v54, v4, 0xbbad, v29
	v_add_f16_e32 v39, v50, v39
	v_pk_add_f16 v45, v45, v48
	v_mul_f16_sdwa v50, v46, v55 dst_sel:DWORD dst_unused:UNUSED_PAD src0_sel:WORD_1 src1_sel:DWORD
	v_fmamk_f16 v48, v46, 0xb482, v18
	v_add_f16_e32 v43, v54, v43
	v_fma_f16 v29, v4, 0xbbad, -v29
	v_mul_f16_sdwa v54, v4, v22 dst_sel:DWORD dst_unused:UNUSED_PAD src0_sel:WORD_1 src1_sel:DWORD
	v_fmac_f16_e32 v18, 0x3482, v46
	v_add_f16_e32 v44, v48, v44
	v_fmamk_f16 v48, v4, 0x36a6, v50
	v_add_f16_e32 v21, v29, v21
	v_fmamk_f16 v29, v46, 0xbb47, v54
	v_add_f16_e32 v18, v18, v36
	v_fma_f16 v50, v4, 0x36a6, -v50
	v_add_f16_e32 v36, v48, v41
	v_mul_f16_sdwa v41, v46, v56 dst_sel:DWORD dst_unused:UNUSED_PAD src0_sel:WORD_1 src1_sel:DWORD
	v_mov_b32_e32 v48, 0x3abb
	v_add_f16_e32 v29, v29, v42
	v_fmac_f16_e32 v54, 0x3b47, v46
	v_add_f16_e32 v23, v50, v23
	v_fmamk_f16 v42, v4, 0x3abb, v41
	v_mul_f16_sdwa v57, v4, v48 dst_sel:DWORD dst_unused:UNUSED_PAD src0_sel:WORD_1 src1_sel:DWORD
	v_pk_mul_f16 v50, 0xba0c, v5 op_sel_hi:[0,1]
	v_fma_f16 v41, v4, 0x3abb, -v41
	v_mul_f16_sdwa v26, v52, v26 dst_sel:DWORD dst_unused:UNUSED_PAD src0_sel:WORD_1 src1_sel:DWORD
	v_add_f16_e32 v37, v54, v37
	v_add_f16_e32 v42, v42, v47
	v_fmamk_f16 v47, v46, 0x3853, v57
	v_pk_fma_f16 v54, 0xb93d, v52, v50 op_sel:[0,0,1] op_sel_hi:[0,1,0]
	v_pk_fma_f16 v50, 0xb93d, v52, v50 op_sel:[0,0,1] op_sel_hi:[0,1,0] neg_lo:[0,0,1] neg_hi:[0,0,1]
	v_mul_f16_sdwa v53, v5, v53 dst_sel:DWORD dst_unused:UNUSED_PAD src0_sel:WORD_1 src1_sel:DWORD
	v_add_f16_e32 v38, v41, v38
	v_fmamk_f16 v41, v5, 0xbbeb, v26
	v_add_f16_e32 v2, v47, v2
	v_bfi_b32 v47, 0xffff, v54, v50
	v_fmamk_f16 v58, v52, 0xb08e, v53
	v_fma_f16 v53, v52, 0xb08e, -v53
	v_add_f16_e32 v41, v41, v44
	v_fmac_f16_e32 v26, 0x3beb, v5
	v_mul_f16_sdwa v44, v52, v48 dst_sel:DWORD dst_unused:UNUSED_PAD src0_sel:WORD_1 src1_sel:DWORD
	v_pk_add_f16 v45, v47, v45
	v_mul_f16_sdwa v47, v5, v56 dst_sel:DWORD dst_unused:UNUSED_PAD src0_sel:WORD_1 src1_sel:DWORD
	v_add_f16_e32 v21, v53, v21
	v_mov_b32_e32 v53, 0xb482
	v_add_f16_e32 v18, v26, v18
	v_fmamk_f16 v26, v5, 0x3853, v44
	v_fmamk_f16 v56, v52, 0x3abb, v47
	v_fma_f16 v47, v52, 0x3abb, -v47
	v_mul_f16_sdwa v53, v5, v53 dst_sel:DWORD dst_unused:UNUSED_PAD src0_sel:WORD_1 src1_sel:DWORD
	v_fmac_f16_e32 v44, 0xb853, v5
	v_add_f16_e32 v26, v26, v29
	v_pk_add_f16 v29, v6, v7 neg_lo:[0,1] neg_hi:[0,1]
	v_mul_f16_sdwa v3, v52, v3 dst_sel:DWORD dst_unused:UNUSED_PAD src0_sel:WORD_1 src1_sel:DWORD
	v_add_f16_e32 v23, v47, v23
	v_fmamk_f16 v47, v52, 0xbbad, v53
	v_pk_add_f16 v6, v7, v6
	v_pk_mul_f16 v7, 0xb482, v29 op_sel_hi:[0,1]
	v_fmac_f16_e32 v57, 0xb853, v46
	v_add_f16_e32 v36, v56, v36
	v_add_f16_e32 v37, v44, v37
	v_mov_b32_e32 v44, 0x3853
	v_fmamk_f16 v56, v5, 0x3482, v3
	v_add_f16_e32 v42, v47, v42
	v_pk_fma_f16 v47, 0xbbad, v6, v7 op_sel:[0,0,1] op_sel_hi:[0,1,0]
	v_pk_fma_f16 v7, 0xbbad, v6, v7 op_sel:[0,0,1] op_sel_hi:[0,1,0] neg_lo:[0,0,1] neg_hi:[0,0,1]
	v_add_f16_e32 v39, v57, v39
	v_mul_f16_sdwa v44, v29, v44 dst_sel:DWORD dst_unused:UNUSED_PAD src0_sel:WORD_1 src1_sel:DWORD
	v_add_f16_e32 v2, v56, v2
	v_fmac_f16_e32 v3, 0xb482, v5
	v_bfi_b32 v56, 0xffff, v47, v7
	v_mul_f16_sdwa v48, v6, v48 dst_sel:DWORD dst_unused:UNUSED_PAD src0_sel:WORD_1 src1_sel:DWORD
	v_fmamk_f16 v57, v6, 0x3abb, v44
	v_mul_f16_sdwa v27, v29, v27 dst_sel:DWORD dst_unused:UNUSED_PAD src0_sel:WORD_1 src1_sel:DWORD
	v_add_f16_e32 v3, v3, v39
	v_pk_add_f16 v39, v56, v45
	v_fmamk_f16 v45, v29, 0xb853, v48
	v_fma_f16 v44, v6, 0x3abb, -v44
	v_mul_f16_sdwa v28, v6, v28 dst_sel:DWORD dst_unused:UNUSED_PAD src0_sel:WORD_1 src1_sel:DWORD
	v_fma_f16 v53, v52, 0xbbad, -v53
	v_mul_f16_sdwa v22, v6, v22 dst_sel:DWORD dst_unused:UNUSED_PAD src0_sel:WORD_1 src1_sel:DWORD
	v_add_f16_e32 v41, v45, v41
	v_fmamk_f16 v45, v6, 0xb93d, v27
	v_add_f16_e32 v21, v44, v21
	v_fmamk_f16 v44, v29, 0x3a0c, v28
	v_fma_f16 v27, v6, 0xb93d, -v27
	v_fmac_f16_e32 v28, 0xba0c, v29
	v_add_f16_e32 v38, v53, v38
	v_mad_u32_u24 v53, v8, 40, v9
	v_pk_mul_f16 v32, 0xbbad, v32 op_sel_hi:[0,1]
	v_add_f16_e32 v23, v27, v23
	v_add_f16_e32 v27, v28, v37
	v_fmamk_f16 v37, v29, 0xbb47, v22
	v_add_f16_e32 v36, v45, v36
	v_add_f16_e32 v26, v44, v26
	v_fmac_f16_e32 v22, 0x3b47, v29
	ds_write2_b32 v53, v0, v39 offset1:1
	v_add_f16_e32 v2, v37, v2
	v_pk_fma_f16 v37, 0xb482, v31, v32 op_sel:[0,0,1] op_sel_hi:[0,1,0]
	v_pk_mul_f16 v0, 0x3abb, v33 op_sel_hi:[0,1]
	v_add_f16_e32 v3, v22, v3
	v_pack_b32_f16 v26, v36, v26
	v_pk_fma_f16 v31, 0xb482, v31, v32 op_sel:[0,0,1] op_sel_hi:[0,1,0] neg_lo:[0,1,0] neg_hi:[0,1,0]
	v_alignbit_b32 v22, s0, v37, 16
	v_pk_fma_f16 v32, 0x3853, v34, v0 op_sel:[0,0,1] op_sel_hi:[0,1,0]
	v_pk_mul_f16 v4, 0xb93d, v4 op_sel_hi:[0,1]
	v_alignbit_b32 v36, s0, v20, 16
	v_pk_add_f16 v31, v20, v31 op_sel:[1,0] op_sel_hi:[0,1]
	v_pk_add_f16 v22, v20, v22
	v_alignbit_b32 v39, s0, v32, 16
	v_pk_fma_f16 v0, 0x3853, v34, v0 op_sel:[0,0,1] op_sel_hi:[0,1,0] neg_lo:[0,1,0] neg_hi:[0,1,0]
	v_pk_fma_f16 v34, 0xba0c, v46, v4 op_sel:[0,0,1] op_sel_hi:[0,1,0]
	v_pk_add_f16 v36, v36, v37
	v_pk_mul_f16 v37, 0x36a6, v52 op_sel_hi:[0,1]
	v_mul_f16_sdwa v45, v29, v55 dst_sel:DWORD dst_unused:UNUSED_PAD src0_sel:WORD_1 src1_sel:DWORD
	v_pk_add_f16 v22, v39, v22
	v_pk_add_f16 v0, v0, v31
	v_alignbit_b32 v31, s0, v34, 16
	v_pk_fma_f16 v4, 0xba0c, v46, v4 op_sel:[0,0,1] op_sel_hi:[0,1,0] neg_lo:[0,1,0] neg_hi:[0,1,0]
	v_pk_fma_f16 v39, 0x3b47, v5, v37 op_sel:[0,0,1] op_sel_hi:[0,1,0]
	v_bfi_b32 v1, 0xffff, v35, v1
	v_fmamk_f16 v28, v6, 0x36a6, v45
	v_fma_f16 v44, v6, 0x36a6, -v45
	v_pk_add_f16 v32, v32, v36
	v_pk_add_f16 v22, v31, v22
	;; [unrolled: 1-line block ×3, first 2 shown]
	v_alignbit_b32 v4, s0, v39, 16
	v_pk_mul_f16 v6, 0xb08e, v6 op_sel_hi:[0,1]
	v_pk_add_f16 v1, v20, v1
	v_bfi_b32 v20, 0xffff, v40, v49
	v_pk_add_f16 v31, v34, v32
	v_pk_fma_f16 v5, 0x3b47, v5, v37 op_sel:[0,0,1] op_sel_hi:[0,1,0] neg_lo:[0,1,0] neg_hi:[0,1,0]
	v_pk_add_f16 v4, v4, v22
	v_pk_fma_f16 v22, 0xbbeb, v29, v6 op_sel:[0,0,1] op_sel_hi:[0,1,0]
	v_pk_add_f16 v1, v20, v1
	v_bfi_b32 v19, 0xffff, v19, v51
	v_add_f16_e32 v43, v58, v43
	v_pk_add_f16 v0, v5, v0
	v_pk_fma_f16 v5, 0xbbeb, v29, v6 op_sel:[0,0,1] op_sel_hi:[0,1,0] neg_lo:[0,1,0] neg_hi:[0,1,0]
	v_pk_add_f16 v6, v39, v31
	v_alignbit_b32 v20, s0, v22, 16
	v_fmac_f16_e32 v48, 0x3853, v29
	v_pk_add_f16 v1, v19, v1
	v_bfi_b32 v19, 0xffff, v50, v54
	v_add_f16_e32 v43, v57, v43
	v_add_f16_e32 v28, v28, v42
	v_pk_add_f16 v0, v5, v0
	v_pk_add_f16 v5, v22, v6
	;; [unrolled: 1-line block ×3, first 2 shown]
	v_add_f16_e32 v38, v44, v38
	v_add_f16_e32 v18, v48, v18
	v_pk_add_f16 v1, v19, v1
	v_bfi_b32 v6, 0xffff, v7, v47
	v_pack_b32_f16 v33, v43, v41
	v_pack_b32_f16 v2, v28, v2
	v_alignbit_b32 v5, v5, v0, 16
	v_pack_b32_f16 v0, v4, v0
	v_pack_b32_f16 v7, v23, v27
	;; [unrolled: 1-line block ×3, first 2 shown]
	v_pk_add_f16 v4, v6, v1
	v_pack_b32_f16 v1, v21, v18
	v_lshl_add_u32 v27, v16, 2, v25
	ds_write2_b32 v53, v33, v26 offset0:2 offset1:3
	ds_write_b32 v53, v2 offset:16
	ds_write2_b32 v53, v0, v5 offset0:5 offset1:6
	ds_write2_b32 v53, v3, v7 offset0:7 offset1:8
	ds_write2_b32 v53, v1, v4 offset0:9 offset1:10
	v_lshl_add_u32 v26, v15, 2, v25
	v_lshl_add_u32 v28, v17, 2, v25
	;; [unrolled: 1-line block ×3, first 2 shown]
	s_waitcnt lgkmcnt(0)
	s_barrier
	buffer_gl0_inv
	ds_read_b32 v18, v24
	ds_read2_b32 v[0:1], v9 offset0:121 offset1:143
	ds_read2_b32 v[2:3], v9 offset0:165 offset1:187
	ds_read_b32 v19, v27
	ds_read_b32 v20, v26
	;; [unrolled: 1-line block ×4, first 2 shown]
	ds_read_b32 v23, v9 offset:836
	v_lshrrev_b32_e32 v5, 16, v4
	v_cmp_gt_u32_e64 s0, 11, v8
	v_lshlrev_b32_e32 v31, 2, v14
                                        ; implicit-def: $vgpr7
                                        ; implicit-def: $vgpr6
	s_and_saveexec_b32 s1, s0
	s_cbranch_execz .LBB0_14
; %bb.13:
	v_add3_u32 v4, 0, v31, v30
	ds_read_b32 v4, v4
	ds_read_b32 v6, v9 offset:924
	s_waitcnt lgkmcnt(1)
	v_lshrrev_b32_e32 v5, 16, v4
	s_waitcnt lgkmcnt(0)
	v_lshrrev_b32_e32 v7, 16, v6
.LBB0_14:
	s_or_b32 exec_lo, exec_lo, s1
	v_and_b32_e32 v35, 0xff, v15
	v_and_b32_e32 v32, 0xff, v12
	;; [unrolled: 1-line block ×4, first 2 shown]
	v_add_nc_u32_e32 v40, -11, v8
	v_mul_lo_u16 v35, 0x75, v35
	v_mul_lo_u16 v32, 0x75, v32
	;; [unrolled: 1-line block ×4, first 2 shown]
	v_lshrrev_b16 v35, 8, v35
	v_lshrrev_b16 v32, 8, v32
	v_lshrrev_b16 v34, 8, v34
	v_lshrrev_b16 v33, 8, v33
	v_sub_nc_u16 v39, v15, v35
	v_sub_nc_u16 v36, v12, v32
	;; [unrolled: 1-line block ×4, first 2 shown]
	v_lshrrev_b16 v39, 1, v39
	v_lshrrev_b16 v36, 1, v36
	;; [unrolled: 1-line block ×4, first 2 shown]
	v_and_b32_e32 v39, 0x7f, v39
	v_and_b32_e32 v36, 0x7f, v36
	;; [unrolled: 1-line block ×4, first 2 shown]
	v_add_nc_u16 v35, v39, v35
	v_add_nc_u16 v32, v36, v32
	;; [unrolled: 1-line block ×4, first 2 shown]
	v_mov_b32_e32 v34, 0
	v_lshrrev_b16 v39, 3, v35
	v_lshrrev_b16 v37, 3, v32
	;; [unrolled: 1-line block ×4, first 2 shown]
	v_cndmask_b32_e64 v33, v40, v8, s0
	v_mul_lo_u16 v43, v39, 11
	v_mul_lo_u16 v35, v37, 11
	;; [unrolled: 1-line block ×4, first 2 shown]
	v_mov_b32_e32 v32, 2
	v_sub_nc_u16 v43, v15, v43
	v_sub_nc_u16 v40, v12, v35
	;; [unrolled: 1-line block ×3, first 2 shown]
	v_lshlrev_b64 v[34:35], 2, v[33:34]
	v_sub_nc_u16 v41, v17, v41
	v_lshlrev_b32_sdwa v43, v32, v43 dst_sel:DWORD dst_unused:UNUSED_PAD src0_sel:DWORD src1_sel:BYTE_0
	v_lshlrev_b32_sdwa v40, v32, v40 dst_sel:DWORD dst_unused:UNUSED_PAD src0_sel:DWORD src1_sel:BYTE_0
	;; [unrolled: 1-line block ×3, first 2 shown]
	v_and_b32_e32 v37, 0xffff, v37
	v_lshlrev_b32_sdwa v41, v32, v41 dst_sel:DWORD dst_unused:UNUSED_PAD src0_sel:DWORD src1_sel:BYTE_0
	v_add_co_u32 v34, s1, s8, v34
	v_add_co_ci_u32_e64 v35, s1, s9, v35, s1
	s_clause 0x4
	global_load_dword v44, v43, s[8:9]
	global_load_dword v45, v42, s[8:9]
	;; [unrolled: 1-line block ×4, first 2 shown]
	global_load_dword v34, v[34:35], off
	v_cmp_lt_u32_e64 s1, 10, v8
	v_and_b32_e32 v38, 0xffff, v38
	v_and_b32_e32 v39, 0xffff, v39
	;; [unrolled: 1-line block ×3, first 2 shown]
	v_lshlrev_b32_e32 v33, 2, v33
	v_cndmask_b32_e64 v35, 0, 0x58, s1
	v_mad_u32_u24 v37, 0x58, v37, 0
	v_mad_u32_u24 v38, 0x58, v38, 0
	;; [unrolled: 1-line block ×4, first 2 shown]
	v_add_nc_u32_e32 v35, 0, v35
	s_waitcnt vmcnt(0) lgkmcnt(0)
	s_barrier
	buffer_gl0_inv
	v_add3_u32 v36, v36, v42, v30
	v_add3_u32 v33, v35, v33, v30
	v_add3_u32 v35, v37, v40, v30
	v_add3_u32 v37, v38, v41, v30
	v_add3_u32 v38, v39, v43, v30
	v_pk_mul_f16 v39, v44, v23 op_sel:[0,1]
	v_pk_mul_f16 v40, v45, v3 op_sel:[0,1]
	;; [unrolled: 1-line block ×5, first 2 shown]
	v_pk_fma_f16 v48, v44, v23, v39 op_sel:[0,0,1] op_sel_hi:[1,1,0]
	v_pk_fma_f16 v49, v45, v3, v40 op_sel:[0,0,1] op_sel_hi:[1,1,0]
	;; [unrolled: 1-line block ×5, first 2 shown]
	v_pk_fma_f16 v0, v34, v0, v43 op_sel:[0,0,1] op_sel_hi:[1,0,0] neg_lo:[1,0,0] neg_hi:[1,0,0]
	v_pk_fma_f16 v1, v47, v1, v42 op_sel:[0,0,1] op_sel_hi:[1,0,0] neg_lo:[1,0,0] neg_hi:[1,0,0]
	;; [unrolled: 1-line block ×5, first 2 shown]
	v_bfi_b32 v0, 0xffff, v52, v0
	v_bfi_b32 v1, 0xffff, v51, v1
	;; [unrolled: 1-line block ×5, first 2 shown]
	v_pk_add_f16 v0, v18, v0 neg_lo:[0,1] neg_hi:[0,1]
	v_pk_add_f16 v1, v22, v1 neg_lo:[0,1] neg_hi:[0,1]
	;; [unrolled: 1-line block ×5, first 2 shown]
	v_pk_fma_f16 v18, v18, 2.0, v0 op_sel_hi:[1,0,1] neg_lo:[0,0,1] neg_hi:[0,0,1]
	v_pk_fma_f16 v22, v22, 2.0, v1 op_sel_hi:[1,0,1] neg_lo:[0,0,1] neg_hi:[0,0,1]
	;; [unrolled: 1-line block ×5, first 2 shown]
	ds_write2_b32 v33, v18, v0 offset1:11
	ds_write2_b32 v35, v22, v1 offset1:11
	;; [unrolled: 1-line block ×5, first 2 shown]
	s_and_saveexec_b32 s1, s0
	s_cbranch_execz .LBB0_16
; %bb.15:
	v_and_b32_e32 v0, 0xff, v14
	v_mul_lo_u16 v0, 0x75, v0
	v_lshrrev_b16 v0, 8, v0
	v_sub_nc_u16 v1, v14, v0
	v_lshrrev_b16 v1, 1, v1
	v_and_b32_e32 v1, 0x7f, v1
	v_add_nc_u16 v0, v1, v0
	v_lshrrev_b16 v0, 3, v0
	v_mul_lo_u16 v0, v0, 11
	v_sub_nc_u16 v0, v14, v0
	v_lshlrev_b32_sdwa v0, v32, v0 dst_sel:DWORD dst_unused:UNUSED_PAD src0_sel:DWORD src1_sel:BYTE_0
	global_load_dword v1, v0, s[8:9]
	v_add3_u32 v0, 0, v0, v30
	s_waitcnt vmcnt(0)
	v_mul_f16_sdwa v2, v7, v1 dst_sel:DWORD dst_unused:UNUSED_PAD src0_sel:DWORD src1_sel:WORD_1
	v_mul_f16_sdwa v3, v6, v1 dst_sel:DWORD dst_unused:UNUSED_PAD src0_sel:DWORD src1_sel:WORD_1
	v_fmac_f16_e32 v2, v6, v1
	v_fma_f16 v1, v7, v1, -v3
	v_sub_f16_e32 v2, v4, v2
	v_sub_f16_e32 v1, v5, v1
	v_fma_f16 v3, v4, 2.0, -v2
	v_fma_f16 v4, v5, 2.0, -v1
	v_pack_b32_f16 v1, v2, v1
	v_pack_b32_f16 v3, v3, v4
	ds_write2_b32 v0, v3, v1 offset0:220 offset1:231
.LBB0_16:
	s_or_b32 exec_lo, exec_lo, s1
	v_mul_u32_u24_e32 v0, 10, v8
	s_waitcnt lgkmcnt(0)
	s_barrier
	buffer_gl0_inv
	v_add3_u32 v34, 0, v31, v30
	v_lshlrev_b32_e32 v18, 2, v0
	s_mov_b32 s4, exec_lo
	s_clause 0x2
	global_load_dwordx4 v[0:3], v18, s[8:9] offset:44
	global_load_dwordx4 v[4:7], v18, s[8:9] offset:60
	global_load_dwordx2 v[18:19], v18, s[8:9] offset:76
	ds_read2_b32 v[22:23], v9 offset0:132 offset1:154
	ds_read2_b32 v[20:21], v9 offset0:176 offset1:198
	ds_read_b32 v36, v29
	ds_read_b32 v35, v28
	;; [unrolled: 1-line block ×5, first 2 shown]
	ds_read_b32 v30, v9 offset:880
	ds_read_u16 v34, v34 offset:2
	ds_read_b32 v37, v24
	s_waitcnt vmcnt(0) lgkmcnt(0)
	s_barrier
	buffer_gl0_inv
	v_lshrrev_b32_e32 v42, 16, v36
	v_lshrrev_b32_e32 v43, 16, v35
	;; [unrolled: 1-line block ×9, first 2 shown]
	v_mul_f16_sdwa v47, v0, v42 dst_sel:DWORD dst_unused:UNUSED_PAD src0_sel:WORD_1 src1_sel:DWORD
	v_mul_f16_sdwa v48, v0, v36 dst_sel:DWORD dst_unused:UNUSED_PAD src0_sel:WORD_1 src1_sel:DWORD
	v_mul_f16_sdwa v65, v46, v19 dst_sel:DWORD dst_unused:UNUSED_PAD src0_sel:DWORD src1_sel:WORD_1
	v_mul_f16_sdwa v66, v30, v19 dst_sel:DWORD dst_unused:UNUSED_PAD src0_sel:DWORD src1_sel:WORD_1
	v_mul_f16_sdwa v49, v1, v43 dst_sel:DWORD dst_unused:UNUSED_PAD src0_sel:WORD_1 src1_sel:DWORD
	v_mul_f16_sdwa v50, v1, v35 dst_sel:DWORD dst_unused:UNUSED_PAD src0_sel:WORD_1 src1_sel:DWORD
	v_mul_f16_sdwa v55, v34, v4 dst_sel:DWORD dst_unused:UNUSED_PAD src0_sel:DWORD src1_sel:WORD_1
	v_mul_f16_sdwa v57, v38, v5 dst_sel:DWORD dst_unused:UNUSED_PAD src0_sel:DWORD src1_sel:WORD_1
	;; [unrolled: 1-line block ×4, first 2 shown]
	v_fmac_f16_e32 v47, v0, v36
	v_fma_f16 v0, v0, v42, -v48
	v_fmac_f16_e32 v65, v30, v19
	v_fma_f16 v19, v46, v19, -v66
	v_mul_f16_sdwa v51, v2, v44 dst_sel:DWORD dst_unused:UNUSED_PAD src0_sel:WORD_1 src1_sel:DWORD
	v_mul_f16_sdwa v52, v2, v33 dst_sel:DWORD dst_unused:UNUSED_PAD src0_sel:WORD_1 src1_sel:DWORD
	;; [unrolled: 1-line block ×4, first 2 shown]
	v_mul_f16_sdwa v58, v22, v5 dst_sel:DWORD dst_unused:UNUSED_PAD src0_sel:DWORD src1_sel:WORD_1
	v_fmac_f16_e32 v49, v1, v35
	v_fma_f16 v1, v1, v43, -v50
	v_fmac_f16_e32 v55, v4, v32
	v_fmac_f16_e32 v57, v22, v5
	;; [unrolled: 1-line block ×3, first 2 shown]
	v_fma_f16 v18, v41, v18, -v64
	v_sub_f16_e32 v21, v0, v19
	v_add_f16_e32 v22, v0, v19
	v_add_f16_sdwa v0, v0, v37 dst_sel:DWORD dst_unused:UNUSED_PAD src0_sel:DWORD src1_sel:WORD_1
	v_add_f16_e32 v32, v47, v37
	v_mul_f16_sdwa v54, v3, v31 dst_sel:DWORD dst_unused:UNUSED_PAD src0_sel:WORD_1 src1_sel:DWORD
	v_mul_f16_sdwa v59, v39, v6 dst_sel:DWORD dst_unused:UNUSED_PAD src0_sel:DWORD src1_sel:WORD_1
	v_mul_f16_sdwa v60, v23, v6 dst_sel:DWORD dst_unused:UNUSED_PAD src0_sel:DWORD src1_sel:WORD_1
	;; [unrolled: 1-line block ×4, first 2 shown]
	v_fmac_f16_e32 v51, v2, v33
	v_fma_f16 v2, v2, v44, -v52
	v_fmac_f16_e32 v53, v3, v31
	v_sub_f16_e32 v31, v1, v18
	v_add_f16_e32 v33, v1, v18
	v_add_f16_e32 v0, v0, v1
	;; [unrolled: 1-line block ×3, first 2 shown]
	v_fma_f16 v3, v3, v45, -v54
	v_fma_f16 v4, v34, v4, -v56
	;; [unrolled: 1-line block ×3, first 2 shown]
	v_fmac_f16_e32 v59, v23, v6
	v_fma_f16 v6, v39, v6, -v60
	v_fmac_f16_e32 v61, v20, v7
	v_fma_f16 v7, v40, v7, -v62
	v_add_f16_e32 v0, v0, v2
	v_add_f16_e32 v1, v1, v51
	;; [unrolled: 1-line block ×3, first 2 shown]
	v_sub_f16_e32 v23, v47, v65
	v_sub_f16_e32 v35, v2, v7
	v_add_f16_e32 v38, v2, v7
	v_sub_f16_e32 v40, v3, v6
	v_add_f16_e32 v42, v3, v6
	;; [unrolled: 2-line block ×3, first 2 shown]
	v_mul_f16_e32 v48, 0xb853, v21
	v_mul_f16_e32 v50, 0x3abb, v22
	;; [unrolled: 1-line block ×10, first 2 shown]
	v_add_f16_e32 v1, v1, v53
	v_add_f16_e32 v0, v0, v3
	;; [unrolled: 1-line block ×3, first 2 shown]
	v_sub_f16_e32 v34, v49, v63
	v_add_f16_e32 v36, v51, v61
	v_sub_f16_e32 v39, v51, v61
	v_add_f16_e32 v41, v53, v59
	;; [unrolled: 2-line block ×3, first 2 shown]
	v_sub_f16_e32 v47, v55, v57
	v_mul_f16_e32 v64, 0xbb47, v31
	v_mul_f16_e32 v66, 0xba0c, v31
	;; [unrolled: 1-line block ×40, first 2 shown]
	v_fmamk_f16 v95, v20, 0x3abb, v48
	v_fmamk_f16 v96, v23, 0x3853, v50
	v_fma_f16 v48, v20, 0x3abb, -v48
	v_fmac_f16_e32 v50, 0xb853, v23
	v_fmamk_f16 v97, v20, 0x36a6, v52
	v_fmamk_f16 v98, v23, 0x3b47, v54
	v_fma_f16 v52, v20, 0x36a6, -v52
	v_fmac_f16_e32 v54, 0xbb47, v23
	;; [unrolled: 4-line block ×5, first 2 shown]
	v_add_f16_e32 v1, v1, v55
	v_add_f16_e32 v0, v0, v4
	v_fmamk_f16 v21, v30, 0x36a6, v64
	v_fma_f16 v23, v30, 0x36a6, -v64
	v_fmamk_f16 v64, v30, 0xb93d, v66
	v_fma_f16 v66, v30, 0xb93d, -v66
	v_fmamk_f16 v105, v30, 0xbbad, v67
	v_fma_f16 v67, v30, 0xbbad, -v67
	v_fmamk_f16 v106, v30, 0xb08e, v68
	v_fma_f16 v68, v30, 0xb08e, -v68
	v_fmamk_f16 v107, v30, 0x3abb, v31
	v_fma_f16 v30, v30, 0x3abb, -v31
	v_fmamk_f16 v31, v34, 0x3b47, v32
	v_fmac_f16_e32 v32, 0xbb47, v34
	v_fmamk_f16 v108, v34, 0x3a0c, v49
	v_fmac_f16_e32 v49, 0xba0c, v34
	v_fmamk_f16 v109, v34, 0xb482, v69
	v_fmac_f16_e32 v69, 0x3482, v34
	v_fmamk_f16 v110, v34, 0xbbeb, v70
	v_fmac_f16_e32 v70, 0x3beb, v34
	v_fmamk_f16 v111, v34, 0xb853, v33
	v_fmac_f16_e32 v33, 0x3853, v34
	v_fmamk_f16 v34, v36, 0xb08e, v71
	v_fma_f16 v71, v36, 0xb08e, -v71
	v_fmamk_f16 v112, v36, 0xbbad, v72
	v_fma_f16 v72, v36, 0xbbad, -v72
	v_fmamk_f16 v113, v36, 0x36a6, v73
	v_fma_f16 v73, v36, 0x36a6, -v73
	v_fmamk_f16 v114, v36, 0x3abb, v74
	v_fma_f16 v74, v36, 0x3abb, -v74
	v_fmamk_f16 v115, v36, 0xb93d, v35
	v_fma_f16 v35, v36, 0xb93d, -v35
	v_fmamk_f16 v2, v39, 0x3beb, v75
	v_fmac_f16_e32 v75, 0xbbeb, v39
	v_fmamk_f16 v36, v39, 0xb482, v76
	v_fmac_f16_e32 v76, 0x3482, v39
	v_fmamk_f16 v51, v39, 0xbb47, v77
	v_fmac_f16_e32 v77, 0x3b47, v39
	v_fmamk_f16 v116, v39, 0x3853, v78
	v_fmac_f16_e32 v78, 0xb853, v39
	v_fmamk_f16 v117, v39, 0x3a0c, v38
	v_fmac_f16_e32 v38, 0xba0c, v39
	;; [unrolled: 20-line block ×4, first 2 shown]
	v_add_f16_e32 v3, v95, v37
	v_add_f16_sdwa v47, v96, v37 dst_sel:DWORD dst_unused:UNUSED_PAD src0_sel:DWORD src1_sel:WORD_1
	v_add_f16_e32 v48, v48, v37
	v_add_f16_sdwa v50, v50, v37 dst_sel:DWORD dst_unused:UNUSED_PAD src0_sel:DWORD src1_sel:WORD_1
	;; [unrolled: 2-line block ×10, first 2 shown]
	v_add_f16_e32 v1, v1, v57
	v_add_f16_e32 v0, v0, v5
	;; [unrolled: 1-line block ×90, first 2 shown]
	v_pack_b32_f16 v2, v3, v2
	v_pack_b32_f16 v3, v6, v7
	;; [unrolled: 1-line block ×11, first 2 shown]
	ds_write2_b32 v9, v3, v6 offset0:44 offset1:66
	ds_write2_b32 v9, v7, v18 offset0:88 offset1:110
	;; [unrolled: 1-line block ×4, first 2 shown]
	ds_write_b32 v9, v4 offset:880
	ds_write2_b32 v9, v0, v2 offset1:22
	s_waitcnt lgkmcnt(0)
	s_barrier
	buffer_gl0_inv
	ds_read_b32 v4, v24
	v_sub_nc_u32_e32 v0, v25, v13
                                        ; implicit-def: $vgpr3
                                        ; implicit-def: $vgpr1
                                        ; implicit-def: $vgpr2
	v_cmpx_ne_u32_e32 0, v8
	s_xor_b32 s4, exec_lo, s4
	s_cbranch_execz .LBB0_18
; %bb.17:
	v_mov_b32_e32 v9, 0
	v_lshlrev_b64 v[1:2], 2, v[8:9]
	v_add_co_u32 v1, s1, s8, v1
	v_add_co_ci_u32_e64 v2, s1, s9, v2, s1
	global_load_dword v3, v[1:2], off offset:924
	ds_read_b32 v1, v0 offset:968
	s_waitcnt lgkmcnt(0)
	v_sub_f16_e32 v2, v4, v1
	v_add_f16_sdwa v5, v1, v4 dst_sel:DWORD dst_unused:UNUSED_PAD src0_sel:WORD_1 src1_sel:WORD_1
	v_sub_f16_sdwa v6, v4, v1 dst_sel:DWORD dst_unused:UNUSED_PAD src0_sel:WORD_1 src1_sel:WORD_1
	v_add_f16_e32 v1, v1, v4
	v_mul_f16_e32 v7, 0.5, v2
	v_mul_f16_e32 v4, 0.5, v5
	;; [unrolled: 1-line block ×3, first 2 shown]
	s_waitcnt vmcnt(0)
	v_lshrrev_b32_e32 v2, 16, v3
	v_mul_f16_e32 v6, v2, v7
	v_fma_f16 v9, v4, v2, v5
	v_fma_f16 v5, v4, v2, -v5
	v_fma_f16 v13, 0.5, v1, v6
	v_fma_f16 v1, v1, 0.5, -v6
	v_fma_f16 v2, -v3, v7, v9
	v_fmac_f16_e32 v13, v3, v4
	v_fma_f16 v1, -v3, v4, v1
	v_fma_f16 v3, -v3, v7, v5
                                        ; implicit-def: $vgpr4
	ds_write_b16 v24, v13
.LBB0_18:
	s_andn2_saveexec_b32 s1, s4
	s_cbranch_execz .LBB0_20
; %bb.19:
	ds_read_u16 v2, v25 offset:486
	s_waitcnt lgkmcnt(1)
	v_add_f16_sdwa v5, v4, v4 dst_sel:DWORD dst_unused:UNUSED_PAD src0_sel:WORD_1 src1_sel:DWORD
	v_sub_f16_sdwa v1, v4, v4 dst_sel:DWORD dst_unused:UNUSED_PAD src0_sel:DWORD src1_sel:WORD_1
	v_mov_b32_e32 v3, 0
	s_waitcnt lgkmcnt(0)
	v_xor_b32_e32 v4, 0x8000, v2
	v_mov_b32_e32 v2, 0
	ds_write_b16 v24, v5
	ds_write_b16 v25, v4 offset:486
.LBB0_20:
	s_or_b32 exec_lo, exec_lo, s1
	v_mov_b32_e32 v13, 0
	v_perm_b32 v1, v3, v1, 0x5040100
	s_waitcnt lgkmcnt(0)
	v_lshlrev_b64 v[4:5], 2, v[12:13]
	v_mov_b32_e32 v18, v13
	v_add_co_u32 v4, s1, s8, v4
	v_add_co_ci_u32_e64 v5, s1, s9, v5, s1
	global_load_dword v6, v[4:5], off offset:924
	v_lshlrev_b64 v[4:5], 2, v[17:18]
	v_mov_b32_e32 v17, v13
	v_add_co_u32 v4, s1, s8, v4
	v_add_co_ci_u32_e64 v5, s1, s9, v5, s1
	global_load_dword v7, v[4:5], off offset:924
	;; [unrolled: 5-line block ×3, first 2 shown]
	v_lshlrev_b64 v[4:5], 2, v[15:16]
	v_add_co_u32 v4, s1, s8, v4
	v_add_co_ci_u32_e64 v5, s1, s9, v5, s1
	global_load_dword v4, v[4:5], off offset:924
	ds_write_b16 v24, v2 offset:2
	ds_write_b32 v0, v1 offset:968
	ds_read_b32 v1, v29
	ds_read_b32 v2, v0 offset:880
	s_waitcnt lgkmcnt(0)
	v_pk_add_f16 v3, v1, v2 neg_lo:[0,1] neg_hi:[0,1]
	v_pk_add_f16 v1, v1, v2
	v_bfi_b32 v2, 0xffff, v3, v1
	v_bfi_b32 v1, 0xffff, v1, v3
	v_pk_mul_f16 v2, v2, 0.5 op_sel_hi:[1,0]
	v_pk_mul_f16 v1, v1, 0.5 op_sel_hi:[1,0]
	s_waitcnt vmcnt(3)
	v_pk_fma_f16 v3, v6, v2, v1 op_sel:[1,0,0]
	v_pk_mul_f16 v5, v6, v2 op_sel_hi:[0,1]
	v_pk_fma_f16 v12, v6, v2, v1 op_sel:[1,0,0] neg_lo:[1,0,0] neg_hi:[1,0,0]
	v_pk_fma_f16 v1, v6, v2, v1 op_sel:[1,0,0] neg_lo:[0,0,1] neg_hi:[0,0,1]
	v_pk_add_f16 v2, v3, v5 op_sel:[0,1] op_sel_hi:[1,0]
	v_pk_add_f16 v3, v3, v5 op_sel:[0,1] op_sel_hi:[1,0] neg_lo:[0,1] neg_hi:[0,1]
	v_pk_add_f16 v6, v12, v5 op_sel:[0,1] op_sel_hi:[1,0] neg_lo:[0,1] neg_hi:[0,1]
	v_pk_add_f16 v1, v1, v5 op_sel:[0,1] op_sel_hi:[1,0] neg_lo:[0,1] neg_hi:[0,1]
	v_bfi_b32 v2, 0xffff, v2, v3
	v_bfi_b32 v1, 0xffff, v6, v1
	ds_write_b32 v29, v2
	ds_write_b32 v0, v1 offset:880
	ds_read_b32 v1, v28
	ds_read_b32 v2, v0 offset:792
	s_waitcnt lgkmcnt(0)
	v_pk_add_f16 v3, v1, v2 neg_lo:[0,1] neg_hi:[0,1]
	v_pk_add_f16 v1, v1, v2
	v_bfi_b32 v2, 0xffff, v3, v1
	v_bfi_b32 v1, 0xffff, v1, v3
	v_pk_mul_f16 v2, v2, 0.5 op_sel_hi:[1,0]
	v_pk_mul_f16 v1, v1, 0.5 op_sel_hi:[1,0]
	s_waitcnt vmcnt(2)
	v_pk_mul_f16 v5, v7, v2 op_sel_hi:[0,1]
	v_pk_fma_f16 v3, v7, v2, v1 op_sel:[1,0,0]
	v_pk_fma_f16 v6, v7, v2, v1 op_sel:[1,0,0] neg_lo:[1,0,0] neg_hi:[1,0,0]
	v_pk_fma_f16 v1, v7, v2, v1 op_sel:[1,0,0] neg_lo:[0,0,1] neg_hi:[0,0,1]
	v_pk_add_f16 v2, v3, v5 op_sel:[0,1] op_sel_hi:[1,0]
	v_pk_add_f16 v3, v3, v5 op_sel:[0,1] op_sel_hi:[1,0] neg_lo:[0,1] neg_hi:[0,1]
	v_pk_add_f16 v6, v6, v5 op_sel:[0,1] op_sel_hi:[1,0] neg_lo:[0,1] neg_hi:[0,1]
	v_pk_add_f16 v1, v1, v5 op_sel:[0,1] op_sel_hi:[1,0] neg_lo:[0,1] neg_hi:[0,1]
	v_bfi_b32 v2, 0xffff, v2, v3
	v_bfi_b32 v1, 0xffff, v6, v1
	ds_write_b32 v28, v2
	ds_write_b32 v0, v1 offset:792
	ds_read_b32 v1, v27
	ds_read_b32 v2, v0 offset:704
	s_waitcnt lgkmcnt(0)
	v_pk_add_f16 v3, v1, v2 neg_lo:[0,1] neg_hi:[0,1]
	v_pk_add_f16 v1, v1, v2
	v_bfi_b32 v2, 0xffff, v3, v1
	v_bfi_b32 v1, 0xffff, v1, v3
	v_pk_mul_f16 v2, v2, 0.5 op_sel_hi:[1,0]
	v_pk_mul_f16 v1, v1, 0.5 op_sel_hi:[1,0]
	s_waitcnt vmcnt(1)
	v_pk_mul_f16 v5, v9, v2 op_sel_hi:[0,1]
	v_pk_fma_f16 v3, v9, v2, v1 op_sel:[1,0,0]
	;; [unrolled: 22-line block ×3, first 2 shown]
	v_pk_fma_f16 v6, v4, v2, v1 op_sel:[1,0,0] neg_lo:[1,0,0] neg_hi:[1,0,0]
	v_pk_fma_f16 v1, v4, v2, v1 op_sel:[1,0,0] neg_lo:[0,0,1] neg_hi:[0,0,1]
	v_pk_add_f16 v2, v3, v5 op_sel:[0,1] op_sel_hi:[1,0]
	v_pk_add_f16 v3, v3, v5 op_sel:[0,1] op_sel_hi:[1,0] neg_lo:[0,1] neg_hi:[0,1]
	v_pk_add_f16 v4, v6, v5 op_sel:[0,1] op_sel_hi:[1,0] neg_lo:[0,1] neg_hi:[0,1]
	;; [unrolled: 1-line block ×3, first 2 shown]
	v_bfi_b32 v2, 0xffff, v2, v3
	v_bfi_b32 v1, 0xffff, v4, v1
	ds_write_b32 v26, v2
	ds_write_b32 v0, v1 offset:616
	s_and_saveexec_b32 s1, s0
	s_cbranch_execz .LBB0_22
; %bb.21:
	v_mov_b32_e32 v15, v13
	v_lshlrev_b64 v[1:2], 2, v[14:15]
	v_add_co_u32 v1, s0, s8, v1
	v_add_co_ci_u32_e64 v2, s0, s9, v2, s0
	global_load_dword v1, v[1:2], off offset:924
	v_lshl_add_u32 v2, v14, 2, v25
	ds_read_b32 v3, v2
	ds_read_b32 v4, v0 offset:528
	s_waitcnt lgkmcnt(0)
	v_pk_add_f16 v5, v3, v4 neg_lo:[0,1] neg_hi:[0,1]
	v_pk_add_f16 v3, v3, v4
	v_bfi_b32 v4, 0xffff, v5, v3
	v_bfi_b32 v3, 0xffff, v3, v5
	v_pk_mul_f16 v4, v4, 0.5 op_sel_hi:[1,0]
	v_pk_mul_f16 v3, v3, 0.5 op_sel_hi:[1,0]
	s_waitcnt vmcnt(0)
	v_pk_fma_f16 v5, v1, v4, v3 op_sel:[1,0,0]
	v_pk_mul_f16 v6, v1, v4 op_sel_hi:[0,1]
	v_pk_fma_f16 v7, v1, v4, v3 op_sel:[1,0,0] neg_lo:[1,0,0] neg_hi:[1,0,0]
	v_pk_fma_f16 v1, v1, v4, v3 op_sel:[1,0,0] neg_lo:[0,0,1] neg_hi:[0,0,1]
	v_pk_add_f16 v3, v5, v6 op_sel:[0,1] op_sel_hi:[1,0]
	v_pk_add_f16 v4, v5, v6 op_sel:[0,1] op_sel_hi:[1,0] neg_lo:[0,1] neg_hi:[0,1]
	v_pk_add_f16 v5, v7, v6 op_sel:[0,1] op_sel_hi:[1,0] neg_lo:[0,1] neg_hi:[0,1]
	;; [unrolled: 1-line block ×3, first 2 shown]
	v_bfi_b32 v3, 0xffff, v3, v4
	v_bfi_b32 v1, 0xffff, v5, v1
	ds_write_b32 v2, v3
	ds_write_b32 v0, v1 offset:528
.LBB0_22:
	s_or_b32 exec_lo, exec_lo, s1
	s_waitcnt lgkmcnt(0)
	s_barrier
	buffer_gl0_inv
	s_and_saveexec_b32 s0, vcc_lo
	s_cbranch_execz .LBB0_25
; %bb.23:
	ds_read2_b32 v[2:3], v24 offset1:22
	ds_read2_b32 v[4:5], v24 offset0:44 offset1:66
	ds_read2_b32 v[6:7], v24 offset0:88 offset1:110
	;; [unrolled: 1-line block ×4, first 2 shown]
	v_mov_b32_e32 v9, 0
	v_add_co_u32 v0, vcc_lo, s2, v10
	v_add_co_ci_u32_e32 v1, vcc_lo, s3, v11, vcc_lo
	ds_read_b32 v11, v24 offset:880
	v_lshlrev_b64 v[16:17], 2, v[8:9]
	v_add_co_u32 v9, vcc_lo, v0, v16
	v_add_co_ci_u32_e32 v10, vcc_lo, v1, v17, vcc_lo
	v_cmp_eq_u32_e32 vcc_lo, 21, v8
	s_waitcnt lgkmcnt(5)
	global_store_dword v[9:10], v2, off
	global_store_dword v[9:10], v3, off offset:88
	s_waitcnt lgkmcnt(4)
	global_store_dword v[9:10], v4, off offset:176
	global_store_dword v[9:10], v5, off offset:264
	s_waitcnt lgkmcnt(3)
	global_store_dword v[9:10], v6, off offset:352
	;; [unrolled: 3-line block ×5, first 2 shown]
	s_and_b32 exec_lo, exec_lo, vcc_lo
	s_cbranch_execz .LBB0_25
; %bb.24:
	ds_read_b32 v2, v24 offset:884
	s_waitcnt lgkmcnt(0)
	global_store_dword v[0:1], v2, off offset:968
.LBB0_25:
	s_endpgm
	.section	.rodata,"a",@progbits
	.p2align	6, 0x0
	.amdhsa_kernel fft_rtc_back_len242_factors_11_2_11_wgs_110_tpt_22_half_ip_CI_unitstride_sbrr_R2C_dirReg
		.amdhsa_group_segment_fixed_size 0
		.amdhsa_private_segment_fixed_size 0
		.amdhsa_kernarg_size 88
		.amdhsa_user_sgpr_count 6
		.amdhsa_user_sgpr_private_segment_buffer 1
		.amdhsa_user_sgpr_dispatch_ptr 0
		.amdhsa_user_sgpr_queue_ptr 0
		.amdhsa_user_sgpr_kernarg_segment_ptr 1
		.amdhsa_user_sgpr_dispatch_id 0
		.amdhsa_user_sgpr_flat_scratch_init 0
		.amdhsa_user_sgpr_private_segment_size 0
		.amdhsa_wavefront_size32 1
		.amdhsa_uses_dynamic_stack 0
		.amdhsa_system_sgpr_private_segment_wavefront_offset 0
		.amdhsa_system_sgpr_workgroup_id_x 1
		.amdhsa_system_sgpr_workgroup_id_y 0
		.amdhsa_system_sgpr_workgroup_id_z 0
		.amdhsa_system_sgpr_workgroup_info 0
		.amdhsa_system_vgpr_workitem_id 0
		.amdhsa_next_free_vgpr 134
		.amdhsa_next_free_sgpr 21
		.amdhsa_reserve_vcc 1
		.amdhsa_reserve_flat_scratch 0
		.amdhsa_float_round_mode_32 0
		.amdhsa_float_round_mode_16_64 0
		.amdhsa_float_denorm_mode_32 3
		.amdhsa_float_denorm_mode_16_64 3
		.amdhsa_dx10_clamp 1
		.amdhsa_ieee_mode 1
		.amdhsa_fp16_overflow 0
		.amdhsa_workgroup_processor_mode 1
		.amdhsa_memory_ordered 1
		.amdhsa_forward_progress 0
		.amdhsa_shared_vgpr_count 0
		.amdhsa_exception_fp_ieee_invalid_op 0
		.amdhsa_exception_fp_denorm_src 0
		.amdhsa_exception_fp_ieee_div_zero 0
		.amdhsa_exception_fp_ieee_overflow 0
		.amdhsa_exception_fp_ieee_underflow 0
		.amdhsa_exception_fp_ieee_inexact 0
		.amdhsa_exception_int_div_zero 0
	.end_amdhsa_kernel
	.text
.Lfunc_end0:
	.size	fft_rtc_back_len242_factors_11_2_11_wgs_110_tpt_22_half_ip_CI_unitstride_sbrr_R2C_dirReg, .Lfunc_end0-fft_rtc_back_len242_factors_11_2_11_wgs_110_tpt_22_half_ip_CI_unitstride_sbrr_R2C_dirReg
                                        ; -- End function
	.section	.AMDGPU.csdata,"",@progbits
; Kernel info:
; codeLenInByte = 9268
; NumSgprs: 23
; NumVgprs: 134
; ScratchSize: 0
; MemoryBound: 0
; FloatMode: 240
; IeeeMode: 1
; LDSByteSize: 0 bytes/workgroup (compile time only)
; SGPRBlocks: 2
; VGPRBlocks: 16
; NumSGPRsForWavesPerEU: 23
; NumVGPRsForWavesPerEU: 134
; Occupancy: 7
; WaveLimiterHint : 1
; COMPUTE_PGM_RSRC2:SCRATCH_EN: 0
; COMPUTE_PGM_RSRC2:USER_SGPR: 6
; COMPUTE_PGM_RSRC2:TRAP_HANDLER: 0
; COMPUTE_PGM_RSRC2:TGID_X_EN: 1
; COMPUTE_PGM_RSRC2:TGID_Y_EN: 0
; COMPUTE_PGM_RSRC2:TGID_Z_EN: 0
; COMPUTE_PGM_RSRC2:TIDIG_COMP_CNT: 0
	.text
	.p2alignl 6, 3214868480
	.fill 48, 4, 3214868480
	.type	__hip_cuid_ae84dd8f398beff7,@object ; @__hip_cuid_ae84dd8f398beff7
	.section	.bss,"aw",@nobits
	.globl	__hip_cuid_ae84dd8f398beff7
__hip_cuid_ae84dd8f398beff7:
	.byte	0                               ; 0x0
	.size	__hip_cuid_ae84dd8f398beff7, 1

	.ident	"AMD clang version 19.0.0git (https://github.com/RadeonOpenCompute/llvm-project roc-6.4.0 25133 c7fe45cf4b819c5991fe208aaa96edf142730f1d)"
	.section	".note.GNU-stack","",@progbits
	.addrsig
	.addrsig_sym __hip_cuid_ae84dd8f398beff7
	.amdgpu_metadata
---
amdhsa.kernels:
  - .args:
      - .actual_access:  read_only
        .address_space:  global
        .offset:         0
        .size:           8
        .value_kind:     global_buffer
      - .offset:         8
        .size:           8
        .value_kind:     by_value
      - .actual_access:  read_only
        .address_space:  global
        .offset:         16
        .size:           8
        .value_kind:     global_buffer
      - .actual_access:  read_only
        .address_space:  global
        .offset:         24
        .size:           8
        .value_kind:     global_buffer
      - .offset:         32
        .size:           8
        .value_kind:     by_value
      - .actual_access:  read_only
        .address_space:  global
        .offset:         40
        .size:           8
        .value_kind:     global_buffer
      - .actual_access:  read_only
        .address_space:  global
        .offset:         48
        .size:           8
        .value_kind:     global_buffer
      - .offset:         56
        .size:           4
        .value_kind:     by_value
      - .actual_access:  read_only
        .address_space:  global
        .offset:         64
        .size:           8
        .value_kind:     global_buffer
      - .actual_access:  read_only
        .address_space:  global
        .offset:         72
        .size:           8
        .value_kind:     global_buffer
      - .address_space:  global
        .offset:         80
        .size:           8
        .value_kind:     global_buffer
    .group_segment_fixed_size: 0
    .kernarg_segment_align: 8
    .kernarg_segment_size: 88
    .language:       OpenCL C
    .language_version:
      - 2
      - 0
    .max_flat_workgroup_size: 110
    .name:           fft_rtc_back_len242_factors_11_2_11_wgs_110_tpt_22_half_ip_CI_unitstride_sbrr_R2C_dirReg
    .private_segment_fixed_size: 0
    .sgpr_count:     23
    .sgpr_spill_count: 0
    .symbol:         fft_rtc_back_len242_factors_11_2_11_wgs_110_tpt_22_half_ip_CI_unitstride_sbrr_R2C_dirReg.kd
    .uniform_work_group_size: 1
    .uses_dynamic_stack: false
    .vgpr_count:     134
    .vgpr_spill_count: 0
    .wavefront_size: 32
    .workgroup_processor_mode: 1
amdhsa.target:   amdgcn-amd-amdhsa--gfx1030
amdhsa.version:
  - 1
  - 2
...

	.end_amdgpu_metadata
